;; amdgpu-corpus repo=ROCm/aiter kind=compiled arch=gfx950 opt=O3
	.amdgcn_target "amdgcn-amd-amdhsa--gfx950"
	.amdhsa_code_object_version 6
	.section	.text._Z19mfma_kernel_genericIDB8_fLi32ELi32ELi16EEvPKT_S3_PT0_iiii,"axG",@progbits,_Z19mfma_kernel_genericIDB8_fLi32ELi32ELi16EEvPKT_S3_PT0_iiii,comdat
	.protected	_Z19mfma_kernel_genericIDB8_fLi32ELi32ELi16EEvPKT_S3_PT0_iiii ; -- Begin function _Z19mfma_kernel_genericIDB8_fLi32ELi32ELi16EEvPKT_S3_PT0_iiii
	.globl	_Z19mfma_kernel_genericIDB8_fLi32ELi32ELi16EEvPKT_S3_PT0_iiii
	.p2align	8
	.type	_Z19mfma_kernel_genericIDB8_fLi32ELi32ELi16EEvPKT_S3_PT0_iiii,@function
_Z19mfma_kernel_genericIDB8_fLi32ELi32ELi16EEvPKT_S3_PT0_iiii: ; @_Z19mfma_kernel_genericIDB8_fLi32ELi32ELi16EEvPKT_S3_PT0_iiii
; %bb.0:
	s_load_dwordx2 s[14:15], s[0:1], 0x10
	s_load_dwordx4 s[4:7], s[0:1], 0x18
	s_lshl_b32 s13, s2, 5
	s_lshl_b32 s12, s3, 5
	v_and_b32_e32 v1, 31, v0
	v_bfe_u32 v20, v0, 5, 1
	v_lshrrev_b32_e32 v2, 2, v0
	s_movk_i32 s2, 0xe0
	v_lshrrev_b32_e32 v0, 1, v0
	v_and_or_b32 v21, v2, s2, v1
	s_waitcnt lgkmcnt(0)
	s_cmp_lt_i32 s4, 1
	v_and_b32_e32 v22, 32, v0
	s_cbranch_scc1 .LBB0_3
; %bb.1:
	s_load_dwordx4 s[8:11], s[0:1], 0x0
	s_mul_i32 s0, s5, s13
	s_ashr_i32 s1, s0, 31
	v_or_b32_e32 v1, v22, v1
	v_lshlrev_b32_e32 v0, 3, v20
	s_waitcnt lgkmcnt(0)
	s_add_u32 s0, s8, s0
	s_addc_u32 s1, s9, s1
	s_mul_i32 s8, s6, s12
	s_and_b32 s1, s1, 0xffff
	s_ashr_i32 s9, s8, 31
	s_add_u32 s8, s10, s8
	s_mov_b32 s3, 0x20000
	s_mov_b32 s2, -1
	s_addc_u32 s9, s11, s9
	s_add_i32 s4, s4, 15
	v_mad_u64_u32 v[16:17], s[10:11], v1, s6, v[0:1]
	v_mad_u64_u32 v[18:19], s[10:11], v21, s5, v[0:1]
	v_mov_b32_e32 v0, 0
	s_and_b32 s9, s9, 0xffff
	s_lshr_b32 s4, s4, 4
	s_mov_b32 s10, s2
	s_mov_b32 s11, s3
	v_mov_b32_e32 v1, v0
	v_mov_b32_e32 v2, v0
	;; [unrolled: 1-line block ×15, first 2 shown]
.LBB0_2:                                ; =>This Inner Loop Header: Depth=1
	buffer_load_dwordx2 v[24:25], v16, s[8:11], 0 offen
	buffer_load_dwordx2 v[26:27], v18, s[0:3], 0 offen
	s_add_i32 s4, s4, -1
	v_add_u32_e32 v18, 16, v18
	s_cmp_eq_u32 s4, 0
	v_add_u32_e32 v16, 16, v16
	s_waitcnt vmcnt(0)
	v_mfma_f32_32x32x16_fp8_fp8 v[0:15], v[24:25], v[26:27], v[0:15]
	s_cbranch_scc0 .LBB0_2
	s_branch .LBB0_4
.LBB0_3:
	v_mov_b32_e32 v15, 0
	v_mov_b32_e32 v14, 0
	;; [unrolled: 1-line block ×16, first 2 shown]
.LBB0_4:
	s_mul_i32 s0, s7, s13
	s_ashr_i32 s1, s0, 31
	s_lshl_b64 s[0:1], s[0:1], 2
	s_add_u32 s2, s14, s0
	s_addc_u32 s3, s15, s1
	s_ashr_i32 s13, s12, 31
	s_lshl_b64 s[0:1], s[12:13], 2
	s_add_u32 s0, s2, s0
	s_addc_u32 s1, s3, s1
	v_mul_lo_u32 v16, v21, s7
	v_lshl_or_b32 v17, v20, 2, v22
	s_and_b32 s1, s1, 0xffff
	s_mov_b32 s3, 0x20000
	s_mov_b32 s2, -1
	v_add_lshl_u32 v16, v17, v16, 2
	buffer_store_dwordx4 v[0:3], v16, s[0:3], 0 offen
	buffer_store_dwordx4 v[4:7], v16, s[0:3], 0 offen offset:32
	buffer_store_dwordx4 v[8:11], v16, s[0:3], 0 offen offset:64
	;; [unrolled: 1-line block ×3, first 2 shown]
	s_endpgm
	.section	.rodata,"a",@progbits
	.p2align	6, 0x0
	.amdhsa_kernel _Z19mfma_kernel_genericIDB8_fLi32ELi32ELi16EEvPKT_S3_PT0_iiii
		.amdhsa_group_segment_fixed_size 0
		.amdhsa_private_segment_fixed_size 0
		.amdhsa_kernarg_size 40
		.amdhsa_user_sgpr_count 2
		.amdhsa_user_sgpr_dispatch_ptr 0
		.amdhsa_user_sgpr_queue_ptr 0
		.amdhsa_user_sgpr_kernarg_segment_ptr 1
		.amdhsa_user_sgpr_dispatch_id 0
		.amdhsa_user_sgpr_kernarg_preload_length 0
		.amdhsa_user_sgpr_kernarg_preload_offset 0
		.amdhsa_user_sgpr_private_segment_size 0
		.amdhsa_uses_dynamic_stack 0
		.amdhsa_enable_private_segment 0
		.amdhsa_system_sgpr_workgroup_id_x 1
		.amdhsa_system_sgpr_workgroup_id_y 1
		.amdhsa_system_sgpr_workgroup_id_z 0
		.amdhsa_system_sgpr_workgroup_info 0
		.amdhsa_system_vgpr_workitem_id 0
		.amdhsa_next_free_vgpr 28
		.amdhsa_next_free_sgpr 16
		.amdhsa_accum_offset 28
		.amdhsa_reserve_vcc 0
		.amdhsa_float_round_mode_32 0
		.amdhsa_float_round_mode_16_64 0
		.amdhsa_float_denorm_mode_32 3
		.amdhsa_float_denorm_mode_16_64 3
		.amdhsa_dx10_clamp 1
		.amdhsa_ieee_mode 1
		.amdhsa_fp16_overflow 0
		.amdhsa_tg_split 0
		.amdhsa_exception_fp_ieee_invalid_op 0
		.amdhsa_exception_fp_denorm_src 0
		.amdhsa_exception_fp_ieee_div_zero 0
		.amdhsa_exception_fp_ieee_overflow 0
		.amdhsa_exception_fp_ieee_underflow 0
		.amdhsa_exception_fp_ieee_inexact 0
		.amdhsa_exception_int_div_zero 0
	.end_amdhsa_kernel
	.section	.text._Z19mfma_kernel_genericIDB8_fLi32ELi32ELi16EEvPKT_S3_PT0_iiii,"axG",@progbits,_Z19mfma_kernel_genericIDB8_fLi32ELi32ELi16EEvPKT_S3_PT0_iiii,comdat
.Lfunc_end0:
	.size	_Z19mfma_kernel_genericIDB8_fLi32ELi32ELi16EEvPKT_S3_PT0_iiii, .Lfunc_end0-_Z19mfma_kernel_genericIDB8_fLi32ELi32ELi16EEvPKT_S3_PT0_iiii
                                        ; -- End function
	.set _Z19mfma_kernel_genericIDB8_fLi32ELi32ELi16EEvPKT_S3_PT0_iiii.num_vgpr, 28
	.set _Z19mfma_kernel_genericIDB8_fLi32ELi32ELi16EEvPKT_S3_PT0_iiii.num_agpr, 0
	.set _Z19mfma_kernel_genericIDB8_fLi32ELi32ELi16EEvPKT_S3_PT0_iiii.numbered_sgpr, 16
	.set _Z19mfma_kernel_genericIDB8_fLi32ELi32ELi16EEvPKT_S3_PT0_iiii.num_named_barrier, 0
	.set _Z19mfma_kernel_genericIDB8_fLi32ELi32ELi16EEvPKT_S3_PT0_iiii.private_seg_size, 0
	.set _Z19mfma_kernel_genericIDB8_fLi32ELi32ELi16EEvPKT_S3_PT0_iiii.uses_vcc, 0
	.set _Z19mfma_kernel_genericIDB8_fLi32ELi32ELi16EEvPKT_S3_PT0_iiii.uses_flat_scratch, 0
	.set _Z19mfma_kernel_genericIDB8_fLi32ELi32ELi16EEvPKT_S3_PT0_iiii.has_dyn_sized_stack, 0
	.set _Z19mfma_kernel_genericIDB8_fLi32ELi32ELi16EEvPKT_S3_PT0_iiii.has_recursion, 0
	.set _Z19mfma_kernel_genericIDB8_fLi32ELi32ELi16EEvPKT_S3_PT0_iiii.has_indirect_call, 0
	.section	.AMDGPU.csdata,"",@progbits
; Kernel info:
; codeLenInByte = 480
; TotalNumSgprs: 22
; NumVgprs: 28
; NumAgprs: 0
; TotalNumVgprs: 28
; ScratchSize: 0
; MemoryBound: 0
; FloatMode: 240
; IeeeMode: 1
; LDSByteSize: 0 bytes/workgroup (compile time only)
; SGPRBlocks: 2
; VGPRBlocks: 3
; NumSGPRsForWavesPerEU: 22
; NumVGPRsForWavesPerEU: 28
; AccumOffset: 28
; Occupancy: 8
; WaveLimiterHint : 0
; COMPUTE_PGM_RSRC2:SCRATCH_EN: 0
; COMPUTE_PGM_RSRC2:USER_SGPR: 2
; COMPUTE_PGM_RSRC2:TRAP_HANDLER: 0
; COMPUTE_PGM_RSRC2:TGID_X_EN: 1
; COMPUTE_PGM_RSRC2:TGID_Y_EN: 1
; COMPUTE_PGM_RSRC2:TGID_Z_EN: 0
; COMPUTE_PGM_RSRC2:TIDIG_COMP_CNT: 0
; COMPUTE_PGM_RSRC3_GFX90A:ACCUM_OFFSET: 6
; COMPUTE_PGM_RSRC3_GFX90A:TG_SPLIT: 0
	.section	.text._Z19mfma_kernel_genericIDU8_fLi32ELi32ELi16EEvPKT_S3_PT0_iiii,"axG",@progbits,_Z19mfma_kernel_genericIDU8_fLi32ELi32ELi16EEvPKT_S3_PT0_iiii,comdat
	.protected	_Z19mfma_kernel_genericIDU8_fLi32ELi32ELi16EEvPKT_S3_PT0_iiii ; -- Begin function _Z19mfma_kernel_genericIDU8_fLi32ELi32ELi16EEvPKT_S3_PT0_iiii
	.globl	_Z19mfma_kernel_genericIDU8_fLi32ELi32ELi16EEvPKT_S3_PT0_iiii
	.p2align	8
	.type	_Z19mfma_kernel_genericIDU8_fLi32ELi32ELi16EEvPKT_S3_PT0_iiii,@function
_Z19mfma_kernel_genericIDU8_fLi32ELi32ELi16EEvPKT_S3_PT0_iiii: ; @_Z19mfma_kernel_genericIDU8_fLi32ELi32ELi16EEvPKT_S3_PT0_iiii
; %bb.0:
	s_load_dwordx2 s[14:15], s[0:1], 0x10
	s_load_dwordx4 s[4:7], s[0:1], 0x18
	s_lshl_b32 s13, s2, 5
	s_lshl_b32 s12, s3, 5
	v_and_b32_e32 v1, 31, v0
	v_bfe_u32 v20, v0, 5, 1
	v_lshrrev_b32_e32 v2, 2, v0
	s_movk_i32 s2, 0xe0
	v_lshrrev_b32_e32 v0, 1, v0
	v_and_or_b32 v21, v2, s2, v1
	s_waitcnt lgkmcnt(0)
	s_cmp_lt_i32 s4, 1
	v_and_b32_e32 v22, 32, v0
	s_cbranch_scc1 .LBB1_3
; %bb.1:
	s_load_dwordx4 s[8:11], s[0:1], 0x0
	s_mul_i32 s0, s5, s13
	s_ashr_i32 s1, s0, 31
	v_or_b32_e32 v1, v22, v1
	v_lshlrev_b32_e32 v0, 3, v20
	s_waitcnt lgkmcnt(0)
	s_add_u32 s0, s8, s0
	s_addc_u32 s1, s9, s1
	s_mul_i32 s8, s6, s12
	s_and_b32 s1, s1, 0xffff
	s_ashr_i32 s9, s8, 31
	s_add_u32 s8, s10, s8
	s_mov_b32 s3, 0x20000
	s_mov_b32 s2, -1
	s_addc_u32 s9, s11, s9
	s_add_i32 s4, s4, 15
	v_mad_u64_u32 v[16:17], s[10:11], v1, s6, v[0:1]
	v_mad_u64_u32 v[18:19], s[10:11], v21, s5, v[0:1]
	v_mov_b32_e32 v0, 0
	s_and_b32 s9, s9, 0xffff
	s_lshr_b32 s4, s4, 4
	s_mov_b32 s10, s2
	s_mov_b32 s11, s3
	v_mov_b32_e32 v1, v0
	v_mov_b32_e32 v2, v0
	;; [unrolled: 1-line block ×15, first 2 shown]
.LBB1_2:                                ; =>This Inner Loop Header: Depth=1
	buffer_load_dwordx2 v[24:25], v16, s[8:11], 0 offen
	buffer_load_dwordx2 v[26:27], v18, s[0:3], 0 offen
	s_add_i32 s4, s4, -1
	v_add_u32_e32 v18, 16, v18
	s_cmp_eq_u32 s4, 0
	v_add_u32_e32 v16, 16, v16
	s_waitcnt vmcnt(0)
	v_mfma_f32_32x32x16_bf8_bf8 v[0:15], v[24:25], v[26:27], v[0:15]
	s_cbranch_scc0 .LBB1_2
	s_branch .LBB1_4
.LBB1_3:
	v_mov_b32_e32 v15, 0
	v_mov_b32_e32 v14, 0
	;; [unrolled: 1-line block ×16, first 2 shown]
.LBB1_4:
	s_mul_i32 s0, s7, s13
	s_ashr_i32 s1, s0, 31
	s_lshl_b64 s[0:1], s[0:1], 2
	s_add_u32 s2, s14, s0
	s_addc_u32 s3, s15, s1
	s_ashr_i32 s13, s12, 31
	s_lshl_b64 s[0:1], s[12:13], 2
	s_add_u32 s0, s2, s0
	s_addc_u32 s1, s3, s1
	v_mul_lo_u32 v16, v21, s7
	v_lshl_or_b32 v17, v20, 2, v22
	s_and_b32 s1, s1, 0xffff
	s_mov_b32 s3, 0x20000
	s_mov_b32 s2, -1
	v_add_lshl_u32 v16, v17, v16, 2
	buffer_store_dwordx4 v[0:3], v16, s[0:3], 0 offen
	buffer_store_dwordx4 v[4:7], v16, s[0:3], 0 offen offset:32
	buffer_store_dwordx4 v[8:11], v16, s[0:3], 0 offen offset:64
	;; [unrolled: 1-line block ×3, first 2 shown]
	s_endpgm
	.section	.rodata,"a",@progbits
	.p2align	6, 0x0
	.amdhsa_kernel _Z19mfma_kernel_genericIDU8_fLi32ELi32ELi16EEvPKT_S3_PT0_iiii
		.amdhsa_group_segment_fixed_size 0
		.amdhsa_private_segment_fixed_size 0
		.amdhsa_kernarg_size 40
		.amdhsa_user_sgpr_count 2
		.amdhsa_user_sgpr_dispatch_ptr 0
		.amdhsa_user_sgpr_queue_ptr 0
		.amdhsa_user_sgpr_kernarg_segment_ptr 1
		.amdhsa_user_sgpr_dispatch_id 0
		.amdhsa_user_sgpr_kernarg_preload_length 0
		.amdhsa_user_sgpr_kernarg_preload_offset 0
		.amdhsa_user_sgpr_private_segment_size 0
		.amdhsa_uses_dynamic_stack 0
		.amdhsa_enable_private_segment 0
		.amdhsa_system_sgpr_workgroup_id_x 1
		.amdhsa_system_sgpr_workgroup_id_y 1
		.amdhsa_system_sgpr_workgroup_id_z 0
		.amdhsa_system_sgpr_workgroup_info 0
		.amdhsa_system_vgpr_workitem_id 0
		.amdhsa_next_free_vgpr 28
		.amdhsa_next_free_sgpr 16
		.amdhsa_accum_offset 28
		.amdhsa_reserve_vcc 0
		.amdhsa_float_round_mode_32 0
		.amdhsa_float_round_mode_16_64 0
		.amdhsa_float_denorm_mode_32 3
		.amdhsa_float_denorm_mode_16_64 3
		.amdhsa_dx10_clamp 1
		.amdhsa_ieee_mode 1
		.amdhsa_fp16_overflow 0
		.amdhsa_tg_split 0
		.amdhsa_exception_fp_ieee_invalid_op 0
		.amdhsa_exception_fp_denorm_src 0
		.amdhsa_exception_fp_ieee_div_zero 0
		.amdhsa_exception_fp_ieee_overflow 0
		.amdhsa_exception_fp_ieee_underflow 0
		.amdhsa_exception_fp_ieee_inexact 0
		.amdhsa_exception_int_div_zero 0
	.end_amdhsa_kernel
	.section	.text._Z19mfma_kernel_genericIDU8_fLi32ELi32ELi16EEvPKT_S3_PT0_iiii,"axG",@progbits,_Z19mfma_kernel_genericIDU8_fLi32ELi32ELi16EEvPKT_S3_PT0_iiii,comdat
.Lfunc_end1:
	.size	_Z19mfma_kernel_genericIDU8_fLi32ELi32ELi16EEvPKT_S3_PT0_iiii, .Lfunc_end1-_Z19mfma_kernel_genericIDU8_fLi32ELi32ELi16EEvPKT_S3_PT0_iiii
                                        ; -- End function
	.set _Z19mfma_kernel_genericIDU8_fLi32ELi32ELi16EEvPKT_S3_PT0_iiii.num_vgpr, 28
	.set _Z19mfma_kernel_genericIDU8_fLi32ELi32ELi16EEvPKT_S3_PT0_iiii.num_agpr, 0
	.set _Z19mfma_kernel_genericIDU8_fLi32ELi32ELi16EEvPKT_S3_PT0_iiii.numbered_sgpr, 16
	.set _Z19mfma_kernel_genericIDU8_fLi32ELi32ELi16EEvPKT_S3_PT0_iiii.num_named_barrier, 0
	.set _Z19mfma_kernel_genericIDU8_fLi32ELi32ELi16EEvPKT_S3_PT0_iiii.private_seg_size, 0
	.set _Z19mfma_kernel_genericIDU8_fLi32ELi32ELi16EEvPKT_S3_PT0_iiii.uses_vcc, 0
	.set _Z19mfma_kernel_genericIDU8_fLi32ELi32ELi16EEvPKT_S3_PT0_iiii.uses_flat_scratch, 0
	.set _Z19mfma_kernel_genericIDU8_fLi32ELi32ELi16EEvPKT_S3_PT0_iiii.has_dyn_sized_stack, 0
	.set _Z19mfma_kernel_genericIDU8_fLi32ELi32ELi16EEvPKT_S3_PT0_iiii.has_recursion, 0
	.set _Z19mfma_kernel_genericIDU8_fLi32ELi32ELi16EEvPKT_S3_PT0_iiii.has_indirect_call, 0
	.section	.AMDGPU.csdata,"",@progbits
; Kernel info:
; codeLenInByte = 480
; TotalNumSgprs: 22
; NumVgprs: 28
; NumAgprs: 0
; TotalNumVgprs: 28
; ScratchSize: 0
; MemoryBound: 0
; FloatMode: 240
; IeeeMode: 1
; LDSByteSize: 0 bytes/workgroup (compile time only)
; SGPRBlocks: 2
; VGPRBlocks: 3
; NumSGPRsForWavesPerEU: 22
; NumVGPRsForWavesPerEU: 28
; AccumOffset: 28
; Occupancy: 8
; WaveLimiterHint : 0
; COMPUTE_PGM_RSRC2:SCRATCH_EN: 0
; COMPUTE_PGM_RSRC2:USER_SGPR: 2
; COMPUTE_PGM_RSRC2:TRAP_HANDLER: 0
; COMPUTE_PGM_RSRC2:TGID_X_EN: 1
; COMPUTE_PGM_RSRC2:TGID_Y_EN: 1
; COMPUTE_PGM_RSRC2:TGID_Z_EN: 0
; COMPUTE_PGM_RSRC2:TIDIG_COMP_CNT: 0
; COMPUTE_PGM_RSRC3_GFX90A:ACCUM_OFFSET: 6
; COMPUTE_PGM_RSRC3_GFX90A:TG_SPLIT: 0
	.section	.text._Z19mfma_kernel_genericIDB8_fLi16ELi16ELi32EEvPKT_S3_PT0_iiii,"axG",@progbits,_Z19mfma_kernel_genericIDB8_fLi16ELi16ELi32EEvPKT_S3_PT0_iiii,comdat
	.protected	_Z19mfma_kernel_genericIDB8_fLi16ELi16ELi32EEvPKT_S3_PT0_iiii ; -- Begin function _Z19mfma_kernel_genericIDB8_fLi16ELi16ELi32EEvPKT_S3_PT0_iiii
	.globl	_Z19mfma_kernel_genericIDB8_fLi16ELi16ELi32EEvPKT_S3_PT0_iiii
	.p2align	8
	.type	_Z19mfma_kernel_genericIDB8_fLi16ELi16ELi32EEvPKT_S3_PT0_iiii,@function
_Z19mfma_kernel_genericIDB8_fLi16ELi16ELi32EEvPKT_S3_PT0_iiii: ; @_Z19mfma_kernel_genericIDB8_fLi16ELi16ELi32EEvPKT_S3_PT0_iiii
; %bb.0:
	s_load_dwordx2 s[14:15], s[0:1], 0x10
	s_load_dwordx4 s[4:7], s[0:1], 0x18
	s_lshl_b32 s13, s2, 4
	s_lshl_b32 s12, s3, 4
	v_and_b32_e32 v1, 15, v0
	v_bfe_u32 v8, v0, 4, 2
	v_lshrrev_b32_e32 v2, 3, v0
	s_movk_i32 s2, 0x70
	v_lshrrev_b32_e32 v0, 2, v0
	v_and_or_b32 v9, v2, s2, v1
	s_waitcnt lgkmcnt(0)
	s_cmp_lt_i32 s4, 1
	v_and_b32_e32 v10, 16, v0
	s_cbranch_scc1 .LBB2_3
; %bb.1:
	s_load_dwordx4 s[8:11], s[0:1], 0x0
	s_mul_i32 s0, s5, s13
	s_ashr_i32 s1, s0, 31
	v_or_b32_e32 v1, v10, v1
	v_lshlrev_b32_e32 v0, 3, v8
	s_waitcnt lgkmcnt(0)
	s_add_u32 s0, s8, s0
	s_addc_u32 s1, s9, s1
	s_mul_i32 s8, s6, s12
	s_and_b32 s1, s1, 0xffff
	s_ashr_i32 s9, s8, 31
	s_add_u32 s8, s10, s8
	s_mov_b32 s3, 0x20000
	s_mov_b32 s2, -1
	s_addc_u32 s9, s11, s9
	s_add_i32 s4, s4, 31
	v_mad_u64_u32 v[4:5], s[10:11], v1, s6, v[0:1]
	v_mad_u64_u32 v[6:7], s[10:11], v9, s5, v[0:1]
	v_mov_b32_e32 v0, 0
	s_and_b32 s9, s9, 0xffff
	s_lshr_b32 s4, s4, 5
	s_mov_b32 s10, s2
	s_mov_b32 s11, s3
	v_mov_b32_e32 v1, v0
	v_mov_b32_e32 v2, v0
	v_mov_b32_e32 v3, v0
.LBB2_2:                                ; =>This Inner Loop Header: Depth=1
	buffer_load_dwordx2 v[12:13], v4, s[8:11], 0 offen
	buffer_load_dwordx2 v[14:15], v6, s[0:3], 0 offen
	s_add_i32 s4, s4, -1
	v_add_u32_e32 v6, 32, v6
	s_cmp_eq_u32 s4, 0
	v_add_u32_e32 v4, 32, v4
	s_waitcnt vmcnt(0)
	v_mfma_f32_16x16x32_fp8_fp8 v[0:3], v[12:13], v[14:15], v[0:3]
	s_cbranch_scc0 .LBB2_2
	s_branch .LBB2_4
.LBB2_3:
	v_mov_b32_e32 v3, 0
	v_mov_b32_e32 v2, 0
	;; [unrolled: 1-line block ×4, first 2 shown]
.LBB2_4:
	s_mul_i32 s0, s7, s13
	s_ashr_i32 s1, s0, 31
	s_lshl_b64 s[0:1], s[0:1], 2
	s_add_u32 s2, s14, s0
	s_addc_u32 s3, s15, s1
	s_ashr_i32 s13, s12, 31
	s_lshl_b64 s[0:1], s[12:13], 2
	s_add_u32 s0, s2, s0
	s_addc_u32 s1, s3, s1
	v_mul_lo_u32 v4, v9, s7
	v_lshl_or_b32 v5, v8, 2, v10
	s_and_b32 s1, s1, 0xffff
	s_mov_b32 s3, 0x20000
	s_mov_b32 s2, -1
	v_add_lshl_u32 v4, v5, v4, 2
	buffer_store_dwordx4 v[0:3], v4, s[0:3], 0 offen
	s_endpgm
	.section	.rodata,"a",@progbits
	.p2align	6, 0x0
	.amdhsa_kernel _Z19mfma_kernel_genericIDB8_fLi16ELi16ELi32EEvPKT_S3_PT0_iiii
		.amdhsa_group_segment_fixed_size 0
		.amdhsa_private_segment_fixed_size 0
		.amdhsa_kernarg_size 40
		.amdhsa_user_sgpr_count 2
		.amdhsa_user_sgpr_dispatch_ptr 0
		.amdhsa_user_sgpr_queue_ptr 0
		.amdhsa_user_sgpr_kernarg_segment_ptr 1
		.amdhsa_user_sgpr_dispatch_id 0
		.amdhsa_user_sgpr_kernarg_preload_length 0
		.amdhsa_user_sgpr_kernarg_preload_offset 0
		.amdhsa_user_sgpr_private_segment_size 0
		.amdhsa_uses_dynamic_stack 0
		.amdhsa_enable_private_segment 0
		.amdhsa_system_sgpr_workgroup_id_x 1
		.amdhsa_system_sgpr_workgroup_id_y 1
		.amdhsa_system_sgpr_workgroup_id_z 0
		.amdhsa_system_sgpr_workgroup_info 0
		.amdhsa_system_vgpr_workitem_id 0
		.amdhsa_next_free_vgpr 16
		.amdhsa_next_free_sgpr 16
		.amdhsa_accum_offset 16
		.amdhsa_reserve_vcc 0
		.amdhsa_float_round_mode_32 0
		.amdhsa_float_round_mode_16_64 0
		.amdhsa_float_denorm_mode_32 3
		.amdhsa_float_denorm_mode_16_64 3
		.amdhsa_dx10_clamp 1
		.amdhsa_ieee_mode 1
		.amdhsa_fp16_overflow 0
		.amdhsa_tg_split 0
		.amdhsa_exception_fp_ieee_invalid_op 0
		.amdhsa_exception_fp_denorm_src 0
		.amdhsa_exception_fp_ieee_div_zero 0
		.amdhsa_exception_fp_ieee_overflow 0
		.amdhsa_exception_fp_ieee_underflow 0
		.amdhsa_exception_fp_ieee_inexact 0
		.amdhsa_exception_int_div_zero 0
	.end_amdhsa_kernel
	.section	.text._Z19mfma_kernel_genericIDB8_fLi16ELi16ELi32EEvPKT_S3_PT0_iiii,"axG",@progbits,_Z19mfma_kernel_genericIDB8_fLi16ELi16ELi32EEvPKT_S3_PT0_iiii,comdat
.Lfunc_end2:
	.size	_Z19mfma_kernel_genericIDB8_fLi16ELi16ELi32EEvPKT_S3_PT0_iiii, .Lfunc_end2-_Z19mfma_kernel_genericIDB8_fLi16ELi16ELi32EEvPKT_S3_PT0_iiii
                                        ; -- End function
	.set _Z19mfma_kernel_genericIDB8_fLi16ELi16ELi32EEvPKT_S3_PT0_iiii.num_vgpr, 16
	.set _Z19mfma_kernel_genericIDB8_fLi16ELi16ELi32EEvPKT_S3_PT0_iiii.num_agpr, 0
	.set _Z19mfma_kernel_genericIDB8_fLi16ELi16ELi32EEvPKT_S3_PT0_iiii.numbered_sgpr, 16
	.set _Z19mfma_kernel_genericIDB8_fLi16ELi16ELi32EEvPKT_S3_PT0_iiii.num_named_barrier, 0
	.set _Z19mfma_kernel_genericIDB8_fLi16ELi16ELi32EEvPKT_S3_PT0_iiii.private_seg_size, 0
	.set _Z19mfma_kernel_genericIDB8_fLi16ELi16ELi32EEvPKT_S3_PT0_iiii.uses_vcc, 0
	.set _Z19mfma_kernel_genericIDB8_fLi16ELi16ELi32EEvPKT_S3_PT0_iiii.uses_flat_scratch, 0
	.set _Z19mfma_kernel_genericIDB8_fLi16ELi16ELi32EEvPKT_S3_PT0_iiii.has_dyn_sized_stack, 0
	.set _Z19mfma_kernel_genericIDB8_fLi16ELi16ELi32EEvPKT_S3_PT0_iiii.has_recursion, 0
	.set _Z19mfma_kernel_genericIDB8_fLi16ELi16ELi32EEvPKT_S3_PT0_iiii.has_indirect_call, 0
	.section	.AMDGPU.csdata,"",@progbits
; Kernel info:
; codeLenInByte = 360
; TotalNumSgprs: 22
; NumVgprs: 16
; NumAgprs: 0
; TotalNumVgprs: 16
; ScratchSize: 0
; MemoryBound: 0
; FloatMode: 240
; IeeeMode: 1
; LDSByteSize: 0 bytes/workgroup (compile time only)
; SGPRBlocks: 2
; VGPRBlocks: 1
; NumSGPRsForWavesPerEU: 22
; NumVGPRsForWavesPerEU: 16
; AccumOffset: 16
; Occupancy: 8
; WaveLimiterHint : 0
; COMPUTE_PGM_RSRC2:SCRATCH_EN: 0
; COMPUTE_PGM_RSRC2:USER_SGPR: 2
; COMPUTE_PGM_RSRC2:TRAP_HANDLER: 0
; COMPUTE_PGM_RSRC2:TGID_X_EN: 1
; COMPUTE_PGM_RSRC2:TGID_Y_EN: 1
; COMPUTE_PGM_RSRC2:TGID_Z_EN: 0
; COMPUTE_PGM_RSRC2:TIDIG_COMP_CNT: 0
; COMPUTE_PGM_RSRC3_GFX90A:ACCUM_OFFSET: 3
; COMPUTE_PGM_RSRC3_GFX90A:TG_SPLIT: 0
	.section	.text._Z19mfma_kernel_genericIDU8_fLi16ELi16ELi32EEvPKT_S3_PT0_iiii,"axG",@progbits,_Z19mfma_kernel_genericIDU8_fLi16ELi16ELi32EEvPKT_S3_PT0_iiii,comdat
	.protected	_Z19mfma_kernel_genericIDU8_fLi16ELi16ELi32EEvPKT_S3_PT0_iiii ; -- Begin function _Z19mfma_kernel_genericIDU8_fLi16ELi16ELi32EEvPKT_S3_PT0_iiii
	.globl	_Z19mfma_kernel_genericIDU8_fLi16ELi16ELi32EEvPKT_S3_PT0_iiii
	.p2align	8
	.type	_Z19mfma_kernel_genericIDU8_fLi16ELi16ELi32EEvPKT_S3_PT0_iiii,@function
_Z19mfma_kernel_genericIDU8_fLi16ELi16ELi32EEvPKT_S3_PT0_iiii: ; @_Z19mfma_kernel_genericIDU8_fLi16ELi16ELi32EEvPKT_S3_PT0_iiii
; %bb.0:
	s_load_dwordx2 s[14:15], s[0:1], 0x10
	s_load_dwordx4 s[4:7], s[0:1], 0x18
	s_lshl_b32 s13, s2, 4
	s_lshl_b32 s12, s3, 4
	v_and_b32_e32 v1, 15, v0
	v_bfe_u32 v8, v0, 4, 2
	v_lshrrev_b32_e32 v2, 3, v0
	s_movk_i32 s2, 0x70
	v_lshrrev_b32_e32 v0, 2, v0
	v_and_or_b32 v9, v2, s2, v1
	s_waitcnt lgkmcnt(0)
	s_cmp_lt_i32 s4, 1
	v_and_b32_e32 v10, 16, v0
	s_cbranch_scc1 .LBB3_3
; %bb.1:
	s_load_dwordx4 s[8:11], s[0:1], 0x0
	s_mul_i32 s0, s5, s13
	s_ashr_i32 s1, s0, 31
	v_or_b32_e32 v1, v10, v1
	v_lshlrev_b32_e32 v0, 3, v8
	s_waitcnt lgkmcnt(0)
	s_add_u32 s0, s8, s0
	s_addc_u32 s1, s9, s1
	s_mul_i32 s8, s6, s12
	s_and_b32 s1, s1, 0xffff
	s_ashr_i32 s9, s8, 31
	s_add_u32 s8, s10, s8
	s_mov_b32 s3, 0x20000
	s_mov_b32 s2, -1
	s_addc_u32 s9, s11, s9
	s_add_i32 s4, s4, 31
	v_mad_u64_u32 v[4:5], s[10:11], v1, s6, v[0:1]
	v_mad_u64_u32 v[6:7], s[10:11], v9, s5, v[0:1]
	v_mov_b32_e32 v0, 0
	s_and_b32 s9, s9, 0xffff
	s_lshr_b32 s4, s4, 5
	s_mov_b32 s10, s2
	s_mov_b32 s11, s3
	v_mov_b32_e32 v1, v0
	v_mov_b32_e32 v2, v0
	;; [unrolled: 1-line block ×3, first 2 shown]
.LBB3_2:                                ; =>This Inner Loop Header: Depth=1
	buffer_load_dwordx2 v[12:13], v4, s[8:11], 0 offen
	buffer_load_dwordx2 v[14:15], v6, s[0:3], 0 offen
	s_add_i32 s4, s4, -1
	v_add_u32_e32 v6, 32, v6
	s_cmp_eq_u32 s4, 0
	v_add_u32_e32 v4, 32, v4
	s_waitcnt vmcnt(0)
	v_mfma_f32_16x16x32_bf8_bf8 v[0:3], v[12:13], v[14:15], v[0:3]
	s_cbranch_scc0 .LBB3_2
	s_branch .LBB3_4
.LBB3_3:
	v_mov_b32_e32 v3, 0
	v_mov_b32_e32 v2, 0
	;; [unrolled: 1-line block ×4, first 2 shown]
.LBB3_4:
	s_mul_i32 s0, s7, s13
	s_ashr_i32 s1, s0, 31
	s_lshl_b64 s[0:1], s[0:1], 2
	s_add_u32 s2, s14, s0
	s_addc_u32 s3, s15, s1
	s_ashr_i32 s13, s12, 31
	s_lshl_b64 s[0:1], s[12:13], 2
	s_add_u32 s0, s2, s0
	s_addc_u32 s1, s3, s1
	v_mul_lo_u32 v4, v9, s7
	v_lshl_or_b32 v5, v8, 2, v10
	s_and_b32 s1, s1, 0xffff
	s_mov_b32 s3, 0x20000
	s_mov_b32 s2, -1
	v_add_lshl_u32 v4, v5, v4, 2
	buffer_store_dwordx4 v[0:3], v4, s[0:3], 0 offen
	s_endpgm
	.section	.rodata,"a",@progbits
	.p2align	6, 0x0
	.amdhsa_kernel _Z19mfma_kernel_genericIDU8_fLi16ELi16ELi32EEvPKT_S3_PT0_iiii
		.amdhsa_group_segment_fixed_size 0
		.amdhsa_private_segment_fixed_size 0
		.amdhsa_kernarg_size 40
		.amdhsa_user_sgpr_count 2
		.amdhsa_user_sgpr_dispatch_ptr 0
		.amdhsa_user_sgpr_queue_ptr 0
		.amdhsa_user_sgpr_kernarg_segment_ptr 1
		.amdhsa_user_sgpr_dispatch_id 0
		.amdhsa_user_sgpr_kernarg_preload_length 0
		.amdhsa_user_sgpr_kernarg_preload_offset 0
		.amdhsa_user_sgpr_private_segment_size 0
		.amdhsa_uses_dynamic_stack 0
		.amdhsa_enable_private_segment 0
		.amdhsa_system_sgpr_workgroup_id_x 1
		.amdhsa_system_sgpr_workgroup_id_y 1
		.amdhsa_system_sgpr_workgroup_id_z 0
		.amdhsa_system_sgpr_workgroup_info 0
		.amdhsa_system_vgpr_workitem_id 0
		.amdhsa_next_free_vgpr 16
		.amdhsa_next_free_sgpr 16
		.amdhsa_accum_offset 16
		.amdhsa_reserve_vcc 0
		.amdhsa_float_round_mode_32 0
		.amdhsa_float_round_mode_16_64 0
		.amdhsa_float_denorm_mode_32 3
		.amdhsa_float_denorm_mode_16_64 3
		.amdhsa_dx10_clamp 1
		.amdhsa_ieee_mode 1
		.amdhsa_fp16_overflow 0
		.amdhsa_tg_split 0
		.amdhsa_exception_fp_ieee_invalid_op 0
		.amdhsa_exception_fp_denorm_src 0
		.amdhsa_exception_fp_ieee_div_zero 0
		.amdhsa_exception_fp_ieee_overflow 0
		.amdhsa_exception_fp_ieee_underflow 0
		.amdhsa_exception_fp_ieee_inexact 0
		.amdhsa_exception_int_div_zero 0
	.end_amdhsa_kernel
	.section	.text._Z19mfma_kernel_genericIDU8_fLi16ELi16ELi32EEvPKT_S3_PT0_iiii,"axG",@progbits,_Z19mfma_kernel_genericIDU8_fLi16ELi16ELi32EEvPKT_S3_PT0_iiii,comdat
.Lfunc_end3:
	.size	_Z19mfma_kernel_genericIDU8_fLi16ELi16ELi32EEvPKT_S3_PT0_iiii, .Lfunc_end3-_Z19mfma_kernel_genericIDU8_fLi16ELi16ELi32EEvPKT_S3_PT0_iiii
                                        ; -- End function
	.set _Z19mfma_kernel_genericIDU8_fLi16ELi16ELi32EEvPKT_S3_PT0_iiii.num_vgpr, 16
	.set _Z19mfma_kernel_genericIDU8_fLi16ELi16ELi32EEvPKT_S3_PT0_iiii.num_agpr, 0
	.set _Z19mfma_kernel_genericIDU8_fLi16ELi16ELi32EEvPKT_S3_PT0_iiii.numbered_sgpr, 16
	.set _Z19mfma_kernel_genericIDU8_fLi16ELi16ELi32EEvPKT_S3_PT0_iiii.num_named_barrier, 0
	.set _Z19mfma_kernel_genericIDU8_fLi16ELi16ELi32EEvPKT_S3_PT0_iiii.private_seg_size, 0
	.set _Z19mfma_kernel_genericIDU8_fLi16ELi16ELi32EEvPKT_S3_PT0_iiii.uses_vcc, 0
	.set _Z19mfma_kernel_genericIDU8_fLi16ELi16ELi32EEvPKT_S3_PT0_iiii.uses_flat_scratch, 0
	.set _Z19mfma_kernel_genericIDU8_fLi16ELi16ELi32EEvPKT_S3_PT0_iiii.has_dyn_sized_stack, 0
	.set _Z19mfma_kernel_genericIDU8_fLi16ELi16ELi32EEvPKT_S3_PT0_iiii.has_recursion, 0
	.set _Z19mfma_kernel_genericIDU8_fLi16ELi16ELi32EEvPKT_S3_PT0_iiii.has_indirect_call, 0
	.section	.AMDGPU.csdata,"",@progbits
; Kernel info:
; codeLenInByte = 360
; TotalNumSgprs: 22
; NumVgprs: 16
; NumAgprs: 0
; TotalNumVgprs: 16
; ScratchSize: 0
; MemoryBound: 0
; FloatMode: 240
; IeeeMode: 1
; LDSByteSize: 0 bytes/workgroup (compile time only)
; SGPRBlocks: 2
; VGPRBlocks: 1
; NumSGPRsForWavesPerEU: 22
; NumVGPRsForWavesPerEU: 16
; AccumOffset: 16
; Occupancy: 8
; WaveLimiterHint : 0
; COMPUTE_PGM_RSRC2:SCRATCH_EN: 0
; COMPUTE_PGM_RSRC2:USER_SGPR: 2
; COMPUTE_PGM_RSRC2:TRAP_HANDLER: 0
; COMPUTE_PGM_RSRC2:TGID_X_EN: 1
; COMPUTE_PGM_RSRC2:TGID_Y_EN: 1
; COMPUTE_PGM_RSRC2:TGID_Z_EN: 0
; COMPUTE_PGM_RSRC2:TIDIG_COMP_CNT: 0
; COMPUTE_PGM_RSRC3_GFX90A:ACCUM_OFFSET: 3
; COMPUTE_PGM_RSRC3_GFX90A:TG_SPLIT: 0
	.section	.AMDGPU.gpr_maximums,"",@progbits
	.set amdgpu.max_num_vgpr, 0
	.set amdgpu.max_num_agpr, 0
	.set amdgpu.max_num_sgpr, 0
	.section	.AMDGPU.csdata,"",@progbits
	.type	__hip_cuid_4db9303efa613424,@object ; @__hip_cuid_4db9303efa613424
	.section	.bss,"aw",@nobits
	.globl	__hip_cuid_4db9303efa613424
__hip_cuid_4db9303efa613424:
	.byte	0                               ; 0x0
	.size	__hip_cuid_4db9303efa613424, 1

	.ident	"AMD clang version 22.0.0git (https://github.com/RadeonOpenCompute/llvm-project roc-7.2.4 26084 f58b06dce1f9c15707c5f808fd002e18c2accf7e)"
	.section	".note.GNU-stack","",@progbits
	.addrsig
	.addrsig_sym __hip_cuid_4db9303efa613424
	.amdgpu_metadata
---
amdhsa.kernels:
  - .agpr_count:     0
    .args:
      - .actual_access:  read_only
        .address_space:  global
        .offset:         0
        .size:           8
        .value_kind:     global_buffer
      - .actual_access:  read_only
        .address_space:  global
        .offset:         8
        .size:           8
        .value_kind:     global_buffer
      - .actual_access:  write_only
        .address_space:  global
        .offset:         16
        .size:           8
        .value_kind:     global_buffer
      - .offset:         24
        .size:           4
        .value_kind:     by_value
      - .offset:         28
        .size:           4
        .value_kind:     by_value
      - .offset:         32
        .size:           4
        .value_kind:     by_value
      - .offset:         36
        .size:           4
        .value_kind:     by_value
    .group_segment_fixed_size: 0
    .kernarg_segment_align: 8
    .kernarg_segment_size: 40
    .language:       OpenCL C
    .language_version:
      - 2
      - 0
    .max_flat_workgroup_size: 1024
    .name:           _Z19mfma_kernel_genericIDB8_fLi32ELi32ELi16EEvPKT_S3_PT0_iiii
    .private_segment_fixed_size: 0
    .sgpr_count:     22
    .sgpr_spill_count: 0
    .symbol:         _Z19mfma_kernel_genericIDB8_fLi32ELi32ELi16EEvPKT_S3_PT0_iiii.kd
    .uniform_work_group_size: 1
    .uses_dynamic_stack: false
    .vgpr_count:     28
    .vgpr_spill_count: 0
    .wavefront_size: 64
  - .agpr_count:     0
    .args:
      - .actual_access:  read_only
        .address_space:  global
        .offset:         0
        .size:           8
        .value_kind:     global_buffer
      - .actual_access:  read_only
        .address_space:  global
        .offset:         8
        .size:           8
        .value_kind:     global_buffer
      - .actual_access:  write_only
        .address_space:  global
        .offset:         16
        .size:           8
        .value_kind:     global_buffer
      - .offset:         24
        .size:           4
        .value_kind:     by_value
      - .offset:         28
        .size:           4
        .value_kind:     by_value
      - .offset:         32
        .size:           4
        .value_kind:     by_value
      - .offset:         36
        .size:           4
        .value_kind:     by_value
    .group_segment_fixed_size: 0
    .kernarg_segment_align: 8
    .kernarg_segment_size: 40
    .language:       OpenCL C
    .language_version:
      - 2
      - 0
    .max_flat_workgroup_size: 1024
    .name:           _Z19mfma_kernel_genericIDU8_fLi32ELi32ELi16EEvPKT_S3_PT0_iiii
    .private_segment_fixed_size: 0
    .sgpr_count:     22
    .sgpr_spill_count: 0
    .symbol:         _Z19mfma_kernel_genericIDU8_fLi32ELi32ELi16EEvPKT_S3_PT0_iiii.kd
    .uniform_work_group_size: 1
    .uses_dynamic_stack: false
    .vgpr_count:     28
    .vgpr_spill_count: 0
    .wavefront_size: 64
  - .agpr_count:     0
    .args:
      - .actual_access:  read_only
        .address_space:  global
        .offset:         0
        .size:           8
        .value_kind:     global_buffer
      - .actual_access:  read_only
        .address_space:  global
        .offset:         8
        .size:           8
        .value_kind:     global_buffer
      - .actual_access:  write_only
        .address_space:  global
        .offset:         16
        .size:           8
        .value_kind:     global_buffer
      - .offset:         24
        .size:           4
        .value_kind:     by_value
      - .offset:         28
        .size:           4
        .value_kind:     by_value
      - .offset:         32
        .size:           4
        .value_kind:     by_value
      - .offset:         36
        .size:           4
        .value_kind:     by_value
    .group_segment_fixed_size: 0
    .kernarg_segment_align: 8
    .kernarg_segment_size: 40
    .language:       OpenCL C
    .language_version:
      - 2
      - 0
    .max_flat_workgroup_size: 1024
    .name:           _Z19mfma_kernel_genericIDB8_fLi16ELi16ELi32EEvPKT_S3_PT0_iiii
    .private_segment_fixed_size: 0
    .sgpr_count:     22
    .sgpr_spill_count: 0
    .symbol:         _Z19mfma_kernel_genericIDB8_fLi16ELi16ELi32EEvPKT_S3_PT0_iiii.kd
    .uniform_work_group_size: 1
    .uses_dynamic_stack: false
    .vgpr_count:     16
    .vgpr_spill_count: 0
    .wavefront_size: 64
  - .agpr_count:     0
    .args:
      - .actual_access:  read_only
        .address_space:  global
        .offset:         0
        .size:           8
        .value_kind:     global_buffer
      - .actual_access:  read_only
        .address_space:  global
        .offset:         8
        .size:           8
        .value_kind:     global_buffer
      - .actual_access:  write_only
        .address_space:  global
        .offset:         16
        .size:           8
        .value_kind:     global_buffer
      - .offset:         24
        .size:           4
        .value_kind:     by_value
      - .offset:         28
        .size:           4
        .value_kind:     by_value
      - .offset:         32
        .size:           4
        .value_kind:     by_value
      - .offset:         36
        .size:           4
        .value_kind:     by_value
    .group_segment_fixed_size: 0
    .kernarg_segment_align: 8
    .kernarg_segment_size: 40
    .language:       OpenCL C
    .language_version:
      - 2
      - 0
    .max_flat_workgroup_size: 1024
    .name:           _Z19mfma_kernel_genericIDU8_fLi16ELi16ELi32EEvPKT_S3_PT0_iiii
    .private_segment_fixed_size: 0
    .sgpr_count:     22
    .sgpr_spill_count: 0
    .symbol:         _Z19mfma_kernel_genericIDU8_fLi16ELi16ELi32EEvPKT_S3_PT0_iiii.kd
    .uniform_work_group_size: 1
    .uses_dynamic_stack: false
    .vgpr_count:     16
    .vgpr_spill_count: 0
    .wavefront_size: 64
amdhsa.target:   amdgcn-amd-amdhsa--gfx950
amdhsa.version:
  - 1
  - 2
...

	.end_amdgpu_metadata
